;; amdgpu-corpus repo=ROCm/rocFFT kind=compiled arch=gfx906 opt=O3
	.text
	.amdgcn_target "amdgcn-amd-amdhsa--gfx906"
	.amdhsa_code_object_version 6
	.protected	fft_rtc_back_len264_factors_8_3_11_wgs_231_tpt_33_sp_ip_CI_unitstride_sbrr_R2C_dirReg ; -- Begin function fft_rtc_back_len264_factors_8_3_11_wgs_231_tpt_33_sp_ip_CI_unitstride_sbrr_R2C_dirReg
	.globl	fft_rtc_back_len264_factors_8_3_11_wgs_231_tpt_33_sp_ip_CI_unitstride_sbrr_R2C_dirReg
	.p2align	8
	.type	fft_rtc_back_len264_factors_8_3_11_wgs_231_tpt_33_sp_ip_CI_unitstride_sbrr_R2C_dirReg,@function
fft_rtc_back_len264_factors_8_3_11_wgs_231_tpt_33_sp_ip_CI_unitstride_sbrr_R2C_dirReg: ; @fft_rtc_back_len264_factors_8_3_11_wgs_231_tpt_33_sp_ip_CI_unitstride_sbrr_R2C_dirReg
; %bb.0:
	s_load_dwordx2 s[2:3], s[4:5], 0x50
	s_load_dwordx4 s[8:11], s[4:5], 0x0
	s_load_dwordx2 s[12:13], s[4:5], 0x18
	v_mul_u32_u24_e32 v1, 0x7c2, v0
	v_lshrrev_b32_e32 v1, 16, v1
	v_mad_u64_u32 v[1:2], s[0:1], s6, 7, v[1:2]
	v_mov_b32_e32 v5, 0
	s_waitcnt lgkmcnt(0)
	v_cmp_lt_u64_e64 s[0:1], s[10:11], 2
	v_mov_b32_e32 v2, v5
	v_mov_b32_e32 v3, 0
	;; [unrolled: 1-line block ×3, first 2 shown]
	s_and_b64 vcc, exec, s[0:1]
	v_mov_b32_e32 v4, 0
	v_mov_b32_e32 v9, v1
	s_cbranch_vccnz .LBB0_8
; %bb.1:
	s_load_dwordx2 s[0:1], s[4:5], 0x10
	s_add_u32 s6, s12, 8
	s_addc_u32 s7, s13, 0
	v_mov_b32_e32 v3, 0
	v_mov_b32_e32 v8, v2
	s_waitcnt lgkmcnt(0)
	s_add_u32 s16, s0, 8
	s_mov_b64 s[14:15], 1
	v_mov_b32_e32 v4, 0
	s_addc_u32 s17, s1, 0
	v_mov_b32_e32 v7, v1
.LBB0_2:                                ; =>This Inner Loop Header: Depth=1
	s_load_dwordx2 s[18:19], s[16:17], 0x0
                                        ; implicit-def: $vgpr9_vgpr10
	s_waitcnt lgkmcnt(0)
	v_or_b32_e32 v6, s19, v8
	v_cmp_ne_u64_e32 vcc, 0, v[5:6]
	s_and_saveexec_b64 s[0:1], vcc
	s_xor_b64 s[20:21], exec, s[0:1]
	s_cbranch_execz .LBB0_4
; %bb.3:                                ;   in Loop: Header=BB0_2 Depth=1
	v_cvt_f32_u32_e32 v2, s18
	v_cvt_f32_u32_e32 v6, s19
	s_sub_u32 s0, 0, s18
	s_subb_u32 s1, 0, s19
	v_mac_f32_e32 v2, 0x4f800000, v6
	v_rcp_f32_e32 v2, v2
	v_mul_f32_e32 v2, 0x5f7ffffc, v2
	v_mul_f32_e32 v6, 0x2f800000, v2
	v_trunc_f32_e32 v6, v6
	v_mac_f32_e32 v2, 0xcf800000, v6
	v_cvt_u32_f32_e32 v6, v6
	v_cvt_u32_f32_e32 v2, v2
	v_mul_lo_u32 v9, s0, v6
	v_mul_hi_u32 v10, s0, v2
	v_mul_lo_u32 v12, s1, v2
	v_mul_lo_u32 v11, s0, v2
	v_add_u32_e32 v9, v10, v9
	v_add_u32_e32 v9, v9, v12
	v_mul_hi_u32 v10, v2, v11
	v_mul_lo_u32 v12, v2, v9
	v_mul_hi_u32 v14, v2, v9
	v_mul_hi_u32 v13, v6, v11
	v_mul_lo_u32 v11, v6, v11
	v_mul_hi_u32 v15, v6, v9
	v_add_co_u32_e32 v10, vcc, v10, v12
	v_addc_co_u32_e32 v12, vcc, 0, v14, vcc
	v_mul_lo_u32 v9, v6, v9
	v_add_co_u32_e32 v10, vcc, v10, v11
	v_addc_co_u32_e32 v10, vcc, v12, v13, vcc
	v_addc_co_u32_e32 v11, vcc, 0, v15, vcc
	v_add_co_u32_e32 v9, vcc, v10, v9
	v_addc_co_u32_e32 v10, vcc, 0, v11, vcc
	v_add_co_u32_e32 v2, vcc, v2, v9
	v_addc_co_u32_e32 v6, vcc, v6, v10, vcc
	v_mul_lo_u32 v9, s0, v6
	v_mul_hi_u32 v10, s0, v2
	v_mul_lo_u32 v11, s1, v2
	v_mul_lo_u32 v12, s0, v2
	v_add_u32_e32 v9, v10, v9
	v_add_u32_e32 v9, v9, v11
	v_mul_lo_u32 v13, v2, v9
	v_mul_hi_u32 v14, v2, v12
	v_mul_hi_u32 v15, v2, v9
	;; [unrolled: 1-line block ×3, first 2 shown]
	v_mul_lo_u32 v12, v6, v12
	v_mul_hi_u32 v10, v6, v9
	v_add_co_u32_e32 v13, vcc, v14, v13
	v_addc_co_u32_e32 v14, vcc, 0, v15, vcc
	v_mul_lo_u32 v9, v6, v9
	v_add_co_u32_e32 v12, vcc, v13, v12
	v_addc_co_u32_e32 v11, vcc, v14, v11, vcc
	v_addc_co_u32_e32 v10, vcc, 0, v10, vcc
	v_add_co_u32_e32 v9, vcc, v11, v9
	v_addc_co_u32_e32 v10, vcc, 0, v10, vcc
	v_add_co_u32_e32 v2, vcc, v2, v9
	v_addc_co_u32_e32 v6, vcc, v6, v10, vcc
	v_mad_u64_u32 v[9:10], s[0:1], v7, v6, 0
	v_mul_hi_u32 v11, v7, v2
	v_add_co_u32_e32 v13, vcc, v11, v9
	v_addc_co_u32_e32 v14, vcc, 0, v10, vcc
	v_mad_u64_u32 v[9:10], s[0:1], v8, v2, 0
	v_mad_u64_u32 v[11:12], s[0:1], v8, v6, 0
	v_add_co_u32_e32 v2, vcc, v13, v9
	v_addc_co_u32_e32 v2, vcc, v14, v10, vcc
	v_addc_co_u32_e32 v6, vcc, 0, v12, vcc
	v_add_co_u32_e32 v2, vcc, v2, v11
	v_addc_co_u32_e32 v6, vcc, 0, v6, vcc
	v_mul_lo_u32 v11, s19, v2
	v_mul_lo_u32 v12, s18, v6
	v_mad_u64_u32 v[9:10], s[0:1], s18, v2, 0
	v_add3_u32 v10, v10, v12, v11
	v_sub_u32_e32 v11, v8, v10
	v_mov_b32_e32 v12, s19
	v_sub_co_u32_e32 v9, vcc, v7, v9
	v_subb_co_u32_e64 v11, s[0:1], v11, v12, vcc
	v_subrev_co_u32_e64 v12, s[0:1], s18, v9
	v_subbrev_co_u32_e64 v11, s[0:1], 0, v11, s[0:1]
	v_cmp_le_u32_e64 s[0:1], s19, v11
	v_cndmask_b32_e64 v13, 0, -1, s[0:1]
	v_cmp_le_u32_e64 s[0:1], s18, v12
	v_cndmask_b32_e64 v12, 0, -1, s[0:1]
	v_cmp_eq_u32_e64 s[0:1], s19, v11
	v_cndmask_b32_e64 v11, v13, v12, s[0:1]
	v_add_co_u32_e64 v12, s[0:1], 2, v2
	v_addc_co_u32_e64 v13, s[0:1], 0, v6, s[0:1]
	v_add_co_u32_e64 v14, s[0:1], 1, v2
	v_addc_co_u32_e64 v15, s[0:1], 0, v6, s[0:1]
	v_subb_co_u32_e32 v10, vcc, v8, v10, vcc
	v_cmp_ne_u32_e64 s[0:1], 0, v11
	v_cmp_le_u32_e32 vcc, s19, v10
	v_cndmask_b32_e64 v11, v15, v13, s[0:1]
	v_cndmask_b32_e64 v13, 0, -1, vcc
	v_cmp_le_u32_e32 vcc, s18, v9
	v_cndmask_b32_e64 v9, 0, -1, vcc
	v_cmp_eq_u32_e32 vcc, s19, v10
	v_cndmask_b32_e32 v9, v13, v9, vcc
	v_cmp_ne_u32_e32 vcc, 0, v9
	v_cndmask_b32_e32 v10, v6, v11, vcc
	v_cndmask_b32_e64 v6, v14, v12, s[0:1]
	v_cndmask_b32_e32 v9, v2, v6, vcc
.LBB0_4:                                ;   in Loop: Header=BB0_2 Depth=1
	s_andn2_saveexec_b64 s[0:1], s[20:21]
	s_cbranch_execz .LBB0_6
; %bb.5:                                ;   in Loop: Header=BB0_2 Depth=1
	v_cvt_f32_u32_e32 v2, s18
	s_sub_i32 s20, 0, s18
	v_rcp_iflag_f32_e32 v2, v2
	v_mul_f32_e32 v2, 0x4f7ffffe, v2
	v_cvt_u32_f32_e32 v2, v2
	v_mul_lo_u32 v6, s20, v2
	v_mul_hi_u32 v6, v2, v6
	v_add_u32_e32 v2, v2, v6
	v_mul_hi_u32 v2, v7, v2
	v_mul_lo_u32 v6, v2, s18
	v_add_u32_e32 v9, 1, v2
	v_sub_u32_e32 v6, v7, v6
	v_subrev_u32_e32 v10, s18, v6
	v_cmp_le_u32_e32 vcc, s18, v6
	v_cndmask_b32_e32 v6, v6, v10, vcc
	v_cndmask_b32_e32 v2, v2, v9, vcc
	v_add_u32_e32 v9, 1, v2
	v_cmp_le_u32_e32 vcc, s18, v6
	v_cndmask_b32_e32 v9, v2, v9, vcc
	v_mov_b32_e32 v10, v5
.LBB0_6:                                ;   in Loop: Header=BB0_2 Depth=1
	s_or_b64 exec, exec, s[0:1]
	v_mul_lo_u32 v2, v10, s18
	v_mul_lo_u32 v6, v9, s19
	v_mad_u64_u32 v[11:12], s[0:1], v9, s18, 0
	s_load_dwordx2 s[0:1], s[6:7], 0x0
	s_add_u32 s14, s14, 1
	v_add3_u32 v2, v12, v6, v2
	v_sub_co_u32_e32 v6, vcc, v7, v11
	v_subb_co_u32_e32 v2, vcc, v8, v2, vcc
	s_waitcnt lgkmcnt(0)
	v_mul_lo_u32 v2, s0, v2
	v_mul_lo_u32 v7, s1, v6
	v_mad_u64_u32 v[3:4], s[0:1], s0, v6, v[3:4]
	s_addc_u32 s15, s15, 0
	s_add_u32 s6, s6, 8
	v_add3_u32 v4, v7, v4, v2
	v_mov_b32_e32 v6, s10
	v_mov_b32_e32 v7, s11
	s_addc_u32 s7, s7, 0
	v_cmp_ge_u64_e32 vcc, s[14:15], v[6:7]
	s_add_u32 s16, s16, 8
	s_addc_u32 s17, s17, 0
	s_cbranch_vccnz .LBB0_8
; %bb.7:                                ;   in Loop: Header=BB0_2 Depth=1
	v_mov_b32_e32 v7, v9
	v_mov_b32_e32 v8, v10
	s_branch .LBB0_2
.LBB0_8:
	s_lshl_b64 s[0:1], s[10:11], 3
	s_add_u32 s0, s12, s0
	s_addc_u32 s1, s13, s1
	s_load_dwordx2 s[6:7], s[0:1], 0x0
	s_load_dwordx2 s[10:11], s[4:5], 0x20
	s_mov_b32 s0, 0x24924925
	v_mul_hi_u32 v5, v1, s0
                                        ; implicit-def: $vgpr24
	s_waitcnt lgkmcnt(0)
	v_mad_u64_u32 v[2:3], s[0:1], s6, v9, v[3:4]
	v_sub_u32_e32 v4, v1, v5
	v_lshrrev_b32_e32 v4, 1, v4
	v_add_u32_e32 v4, v4, v5
	v_lshrrev_b32_e32 v4, 2, v4
	s_mov_b32 s0, 0x7c1f07d
	v_mul_lo_u32 v4, v4, 7
	v_mul_hi_u32 v5, v0, s0
	v_mul_lo_u32 v6, s6, v10
	v_mul_lo_u32 v7, s7, v9
	v_sub_u32_e32 v1, v1, v4
	v_mul_u32_u24_e32 v4, 33, v5
	v_cmp_gt_u64_e32 vcc, s[10:11], v[9:10]
	v_cmp_le_u64_e64 s[0:1], s[10:11], v[9:10]
	v_sub_u32_e32 v20, v0, v4
	v_add3_u32 v3, v7, v3, v6
	v_add_u32_e32 v25, 33, v20
	s_and_saveexec_b64 s[4:5], s[0:1]
	s_xor_b64 s[0:1], exec, s[4:5]
; %bb.9:
	v_add_u32_e32 v25, 33, v20
	v_add_u32_e32 v24, 0x42, v20
; %bb.10:
	s_or_saveexec_b64 s[4:5], s[0:1]
	v_mul_u32_u24_e32 v0, 0x109, v1
	v_lshlrev_b64 v[22:23], 3, v[2:3]
	v_lshlrev_b32_e32 v18, 3, v0
	v_lshlrev_b32_e32 v33, 3, v20
	s_xor_b64 exec, exec, s[4:5]
	s_cbranch_execz .LBB0_12
; %bb.11:
	v_mov_b32_e32 v21, 0
	v_mov_b32_e32 v0, s3
	v_add_co_u32_e64 v2, s[0:1], s2, v22
	v_addc_co_u32_e64 v3, s[0:1], v0, v23, s[0:1]
	v_lshlrev_b64 v[0:1], 3, v[20:21]
	v_add_u32_e32 v24, 0x42, v20
	v_add_co_u32_e64 v0, s[0:1], v2, v0
	v_addc_co_u32_e64 v1, s[0:1], v3, v1, s[0:1]
	global_load_dwordx2 v[2:3], v[0:1], off
	global_load_dwordx2 v[4:5], v[0:1], off offset:264
	global_load_dwordx2 v[6:7], v[0:1], off offset:528
	;; [unrolled: 1-line block ×7, first 2 shown]
	v_add3_u32 v0, 0, v18, v33
	s_waitcnt vmcnt(6)
	ds_write2_b64 v0, v[2:3], v[4:5] offset1:33
	s_waitcnt vmcnt(4)
	ds_write2_b64 v0, v[6:7], v[8:9] offset0:66 offset1:99
	s_waitcnt vmcnt(2)
	ds_write2_b64 v0, v[10:11], v[12:13] offset0:132 offset1:165
	;; [unrolled: 2-line block ×3, first 2 shown]
.LBB0_12:
	s_or_b64 exec, exec, s[4:5]
	v_add3_u32 v21, 0, v33, v18
	s_waitcnt lgkmcnt(0)
	s_barrier
	ds_read2_b64 v[0:3], v21 offset0:33 offset1:66
	ds_read2_b64 v[4:7], v21 offset0:165 offset1:198
	v_add_u32_e32 v31, 0, v18
	v_add_u32_e32 v30, v31, v33
	ds_read_b64 v[8:9], v30
	v_lshl_add_u32 v32, v25, 3, v31
	s_waitcnt lgkmcnt(1)
	v_sub_f32_e32 v10, v2, v6
	v_sub_f32_e32 v11, v3, v7
	v_fma_f32 v12, v2, 2.0, -v10
	v_fma_f32 v13, v3, 2.0, -v11
	v_sub_f32_e32 v14, v0, v4
	v_sub_f32_e32 v15, v1, v5
	ds_read2_b64 v[2:5], v21 offset0:99 offset1:132
	ds_read_b64 v[6:7], v21 offset:1848
	v_fma_f32 v0, v0, 2.0, -v14
	v_fma_f32 v1, v1, 2.0, -v15
	s_waitcnt lgkmcnt(0)
	v_sub_f32_e32 v4, v8, v4
	v_sub_f32_e32 v6, v2, v6
	;; [unrolled: 1-line block ×4, first 2 shown]
	v_fma_f32 v2, v2, 2.0, -v6
	v_fma_f32 v3, v3, 2.0, -v7
	v_fma_f32 v8, v8, 2.0, -v4
	v_fma_f32 v9, v9, 2.0, -v5
	v_sub_f32_e32 v12, v8, v12
	v_sub_f32_e32 v13, v9, v13
	;; [unrolled: 1-line block ×4, first 2 shown]
	v_fma_f32 v8, v8, 2.0, -v12
	v_fma_f32 v9, v9, 2.0, -v13
	;; [unrolled: 1-line block ×4, first 2 shown]
	v_sub_f32_e32 v2, v8, v0
	v_sub_f32_e32 v3, v9, v1
	v_fma_f32 v0, v8, 2.0, -v2
	v_fma_f32 v1, v9, 2.0, -v3
	v_add_f32_e32 v8, v4, v11
	v_sub_f32_e32 v9, v5, v10
	v_fma_f32 v10, v4, 2.0, -v8
	v_fma_f32 v11, v5, 2.0, -v9
	v_add_f32_e32 v19, v14, v7
	v_sub_f32_e32 v26, v15, v6
	v_fma_f32 v6, v14, 2.0, -v19
	v_fma_f32 v7, v15, 2.0, -v26
	v_mov_b32_e32 v4, v10
	v_mov_b32_e32 v5, v11
	v_fmac_f32_e32 v4, 0xbf3504f3, v6
	v_fmac_f32_e32 v5, 0xbf3504f3, v7
	;; [unrolled: 1-line block ×4, first 2 shown]
	v_fma_f32 v6, v10, 2.0, -v4
	v_fma_f32 v7, v11, 2.0, -v5
	v_mad_u32_u24 v10, v20, 56, v21
	s_barrier
	ds_write2_b64 v10, v[0:1], v[6:7] offset1:1
	v_mov_b32_e32 v0, v8
	v_mov_b32_e32 v1, v9
	v_fmac_f32_e32 v0, 0x3f3504f3, v19
	v_fmac_f32_e32 v1, 0x3f3504f3, v26
	v_add_f32_e32 v28, v12, v17
	v_sub_f32_e32 v29, v13, v16
	v_fmac_f32_e32 v0, 0x3f3504f3, v26
	v_fmac_f32_e32 v1, 0xbf3504f3, v19
	v_fma_f32 v6, v12, 2.0, -v28
	v_fma_f32 v7, v13, 2.0, -v29
	;; [unrolled: 1-line block ×4, first 2 shown]
	ds_write2_b64 v10, v[6:7], v[8:9] offset0:2 offset1:3
	ds_write2_b64 v10, v[2:3], v[4:5] offset0:4 offset1:5
	;; [unrolled: 1-line block ×3, first 2 shown]
	s_waitcnt lgkmcnt(0)
	s_barrier
	ds_read_b64 v[2:3], v30
	ds_read_b64 v[4:5], v32
	s_waitcnt lgkmcnt(1)
	ds_read_b32 v3, v30 offset:4
	ds_read2_b64 v[10:13], v21 offset0:88 offset1:121
	ds_read2_b64 v[6:9], v21 offset0:176 offset1:209
	v_cmp_gt_u32_e64 s[0:1], 22, v20
                                        ; implicit-def: $vgpr17
	s_and_saveexec_b64 s[4:5], s[0:1]
	s_cbranch_execz .LBB0_14
; %bb.13:
	v_lshlrev_b32_e32 v0, 3, v24
	ds_read2_b64 v[14:17], v21 offset0:154 offset1:242
	v_add3_u32 v0, 0, v0, v18
	ds_read_b64 v[28:29], v0
	s_waitcnt lgkmcnt(1)
	v_mov_b32_e32 v1, v15
	v_mov_b32_e32 v0, v14
.LBB0_14:
	s_or_b64 exec, exec, s[4:5]
	v_and_b32_e32 v15, 7, v20
	v_lshlrev_b32_e32 v14, 4, v15
	v_and_b32_e32 v19, 7, v25
	global_load_dwordx4 v[34:37], v14, s[8:9]
	v_lshlrev_b32_e32 v14, 4, v19
	global_load_dwordx4 v[38:41], v14, s[8:9]
	v_and_b32_e32 v14, 7, v24
	v_lshlrev_b32_e32 v26, 4, v14
	global_load_dwordx4 v[42:45], v26, s[8:9]
	v_lshrrev_b32_e32 v26, 3, v20
	v_mul_u32_u24_e32 v26, 24, v26
	v_or_b32_e32 v15, v26, v15
	v_lshlrev_b32_e32 v15, 3, v15
	v_add3_u32 v15, 0, v15, v18
	s_waitcnt vmcnt(0) lgkmcnt(0)
	s_barrier
	v_mul_f32_e32 v26, v35, v11
	v_mul_f32_e32 v27, v35, v10
	;; [unrolled: 1-line block ×4, first 2 shown]
	v_fmac_f32_e32 v26, v34, v10
	v_mul_f32_e32 v48, v17, v45
	v_mul_f32_e32 v45, v16, v45
	;; [unrolled: 1-line block ×4, first 2 shown]
	v_fmac_f32_e32 v35, v36, v6
	v_mul_f32_e32 v37, v37, v6
	v_mul_f32_e32 v39, v39, v12
	;; [unrolled: 1-line block ×4, first 2 shown]
	v_fma_f32 v10, v34, v11, -v27
	v_fmac_f32_e32 v46, v38, v12
	v_fma_f32 v11, v17, v44, -v45
	v_fmac_f32_e32 v49, v0, v42
	v_fma_f32 v0, v1, v42, -v43
	v_add_f32_e32 v12, v26, v35
	v_fma_f32 v6, v36, v7, -v37
	v_fma_f32 v7, v38, v13, -v39
	v_fmac_f32_e32 v47, v40, v8
	v_fma_f32 v8, v40, v9, -v41
	v_add_f32_e32 v9, v26, v2
	v_add_f32_e32 v39, v29, v0
	v_sub_f32_e32 v40, v0, v11
	v_add_f32_e32 v0, v0, v11
	v_fmac_f32_e32 v2, -0.5, v12
	v_fmac_f32_e32 v48, v16, v44
	v_sub_f32_e32 v16, v10, v6
	v_fmac_f32_e32 v29, -0.5, v0
	v_mov_b32_e32 v0, v2
	v_fmac_f32_e32 v2, 0x3f5db3d7, v16
	v_fmac_f32_e32 v0, 0xbf5db3d7, v16
	v_lshrrev_b32_e32 v16, 3, v25
	v_add_f32_e32 v1, v3, v10
	v_add_f32_e32 v10, v10, v6
	v_mul_lo_u32 v16, v16, 24
	v_fmac_f32_e32 v3, -0.5, v10
	v_sub_f32_e32 v17, v26, v35
	v_add_f32_e32 v27, v1, v6
	v_mov_b32_e32 v1, v3
	v_add_f32_e32 v36, v7, v8
	v_add_f32_e32 v37, v46, v47
	;; [unrolled: 1-line block ×4, first 2 shown]
	v_fmac_f32_e32 v1, 0x3f5db3d7, v17
	v_sub_f32_e32 v34, v7, v8
	v_add_f32_e32 v13, v5, v7
	v_add_f32_e32 v7, v4, v46
	;; [unrolled: 1-line block ×3, first 2 shown]
	v_fma_f32 v4, -0.5, v37, v4
	v_fmac_f32_e32 v5, -0.5, v36
	v_fmac_f32_e32 v28, -0.5, v42
	v_fmac_f32_e32 v3, 0xbf5db3d7, v17
	ds_write2_b64 v15, v[26:27], v[0:1] offset1:8
	ds_write_b64 v15, v[2:3] offset:128
	v_or_b32_e32 v15, v16, v19
	v_sub_f32_e32 v38, v46, v47
	v_sub_f32_e32 v43, v49, v48
	v_add_f32_e32 v9, v13, v8
	v_add_f32_e32 v8, v7, v47
	;; [unrolled: 1-line block ×3, first 2 shown]
	v_mov_b32_e32 v10, v4
	v_mov_b32_e32 v11, v5
	;; [unrolled: 1-line block ×4, first 2 shown]
	v_lshlrev_b32_e32 v15, 3, v15
	v_add_f32_e32 v6, v41, v48
	v_fmac_f32_e32 v4, 0x3f5db3d7, v34
	v_fmac_f32_e32 v5, 0xbf5db3d7, v38
	v_fmac_f32_e32 v28, 0x3f5db3d7, v40
	v_fmac_f32_e32 v29, 0xbf5db3d7, v43
	v_fmac_f32_e32 v10, 0xbf5db3d7, v34
	v_fmac_f32_e32 v11, 0x3f5db3d7, v38
	v_fmac_f32_e32 v12, 0xbf5db3d7, v40
	v_fmac_f32_e32 v13, 0x3f5db3d7, v43
	v_add3_u32 v15, 0, v15, v18
	ds_write2_b64 v15, v[8:9], v[10:11] offset1:8
	ds_write_b64 v15, v[4:5] offset:128
	s_and_saveexec_b64 s[4:5], s[0:1]
	s_cbranch_execz .LBB0_16
; %bb.15:
	v_lshrrev_b32_e32 v15, 3, v24
	v_mul_lo_u32 v15, v15, 24
	v_or_b32_e32 v14, v15, v14
	v_lshlrev_b32_e32 v14, 3, v14
	v_add3_u32 v14, 0, v14, v18
	ds_write2_b64 v14, v[6:7], v[12:13] offset1:8
	ds_write_b64 v14, v[28:29] offset:128
.LBB0_16:
	s_or_b64 exec, exec, s[4:5]
	v_cmp_gt_u32_e64 s[0:1], 24, v20
	s_waitcnt lgkmcnt(0)
	s_barrier
	s_waitcnt lgkmcnt(0)
                                        ; implicit-def: $vgpr19
	s_and_saveexec_b64 s[4:5], s[0:1]
	s_cbranch_execz .LBB0_18
; %bb.17:
	ds_read_b64 v[26:27], v30
	ds_read2_b64 v[0:3], v21 offset0:24 offset1:48
	ds_read2_b64 v[8:11], v21 offset0:72 offset1:96
	;; [unrolled: 1-line block ×5, first 2 shown]
	s_waitcnt lgkmcnt(2)
	v_mov_b32_e32 v29, v15
	v_mov_b32_e32 v28, v14
.LBB0_18:
	s_or_b64 exec, exec, s[4:5]
	s_waitcnt lgkmcnt(0)
	s_barrier
	s_and_saveexec_b64 s[4:5], s[0:1]
	s_cbranch_execz .LBB0_20
; %bb.19:
	v_subrev_u32_e32 v14, 24, v20
	v_cndmask_b32_e64 v14, v14, v20, s[0:1]
	v_mul_i32_i24_e32 v14, 10, v14
	v_mov_b32_e32 v15, 0
	v_lshlrev_b64 v[14:15], 3, v[14:15]
	v_mov_b32_e32 v34, s9
	v_add_co_u32_e64 v14, s[0:1], s8, v14
	v_addc_co_u32_e64 v15, s[0:1], v34, v15, s[0:1]
	global_load_dwordx4 v[34:37], v[14:15], off offset:192
	global_load_dwordx4 v[38:41], v[14:15], off offset:128
	;; [unrolled: 1-line block ×5, first 2 shown]
	s_mov_b32 s0, 0xbf75a155
	s_mov_b32 s1, 0x3f575c64
	;; [unrolled: 1-line block ×5, first 2 shown]
	s_waitcnt vmcnt(4)
	v_mul_f32_e32 v14, v19, v37
	s_waitcnt vmcnt(3)
	v_mul_f32_e32 v54, v1, v39
	v_mul_f32_e32 v15, v18, v37
	;; [unrolled: 1-line block ×5, first 2 shown]
	v_fmac_f32_e32 v14, v18, v36
	v_fmac_f32_e32 v54, v0, v38
	v_mul_f32_e32 v39, v0, v39
	s_waitcnt vmcnt(2)
	v_mul_f32_e32 v56, v9, v43
	s_waitcnt vmcnt(1)
	v_mul_f32_e32 v57, v29, v49
	v_fmac_f32_e32 v37, v16, v34
	v_fma_f32 v16, v17, v34, -v35
	v_fmac_f32_e32 v55, v2, v40
	v_sub_f32_e32 v35, v54, v14
	v_mul_f32_e32 v41, v2, v41
	v_mul_f32_e32 v59, v11, v45
	v_fma_f32 v15, v19, v36, -v15
	v_fma_f32 v17, v1, v38, -v39
	v_fmac_f32_e32 v57, v28, v48
	v_fmac_f32_e32 v56, v8, v42
	v_sub_f32_e32 v36, v55, v37
	v_mul_f32_e32 v2, 0xbe903f40, v35
	v_mul_f32_e32 v58, v13, v47
	;; [unrolled: 1-line block ×6, first 2 shown]
	s_waitcnt vmcnt(0)
	v_mul_f32_e32 v60, v5, v51
	v_mul_f32_e32 v51, v4, v51
	v_fma_f32 v18, v3, v40, -v41
	v_fmac_f32_e32 v59, v10, v44
	v_add_f32_e32 v10, v17, v15
	v_sub_f32_e32 v38, v56, v57
	v_sub_f32_e32 v41, v17, v15
	v_mul_f32_e32 v3, 0x3f0a6770, v36
	v_mov_b32_e32 v0, v2
	v_mul_f32_e32 v61, v7, v53
	v_fmac_f32_e32 v58, v12, v46
	v_fma_f32 v12, v13, v46, -v47
	v_fma_f32 v13, v29, v48, -v49
	;; [unrolled: 1-line block ×4, first 2 shown]
	v_fmac_f32_e32 v60, v4, v50
	v_fma_f32 v34, v5, v50, -v51
	v_add_f32_e32 v11, v18, v16
	v_add_f32_e32 v40, v54, v14
	v_sub_f32_e32 v43, v18, v16
	v_mul_f32_e32 v4, 0xbf4178ce, v38
	v_mul_f32_e32 v5, 0xbe903f40, v41
	v_mov_b32_e32 v48, v3
	v_fmac_f32_e32 v0, 0xbf75a155, v10
	v_mul_f32_e32 v53, v6, v53
	v_fmac_f32_e32 v61, v6, v52
	v_add_f32_e32 v39, v19, v13
	v_add_f32_e32 v42, v55, v37
	v_sub_f32_e32 v44, v59, v58
	v_sub_f32_e32 v47, v19, v13
	v_mul_f32_e32 v6, 0x3f0a6770, v43
	v_fma_f32 v1, v40, s0, -v5
	v_mov_b32_e32 v49, v4
	v_fmac_f32_e32 v48, 0x3f575c64, v11
	v_add_f32_e32 v0, v27, v0
	v_fma_f32 v29, v7, v52, -v53
	v_add_f32_e32 v46, v56, v57
	v_mul_f32_e32 v7, 0x3f68dda4, v44
	v_mul_f32_e32 v8, 0xbf4178ce, v47
	v_fma_f32 v9, v42, s1, -v6
	v_add_f32_e32 v1, v26, v1
	v_fmac_f32_e32 v49, 0xbf27a4f4, v39
	v_add_f32_e32 v0, v48, v0
	v_fma_f32 v2, v10, s0, -v2
	v_add_f32_e32 v45, v28, v12
	v_mov_b32_e32 v50, v7
	v_fma_f32 v51, v46, s6, -v8
	v_add_f32_e32 v1, v9, v1
	v_add_f32_e32 v0, v49, v0
	v_sub_f32_e32 v49, v28, v12
	v_add_f32_e32 v2, v27, v2
	v_fma_f32 v3, v11, s1, -v3
	v_fmac_f32_e32 v50, 0x3ed4b147, v45
	v_add_f32_e32 v1, v51, v1
	v_add_f32_e32 v48, v59, v58
	v_mul_f32_e32 v9, 0x3f68dda4, v49
	v_sub_f32_e32 v51, v60, v61
	v_add_f32_e32 v2, v3, v2
	v_fma_f32 v3, v39, s6, -v4
	v_add_f32_e32 v0, v50, v0
	v_fma_f32 v50, v48, s7, -v9
	v_mul_f32_e32 v52, 0xbf7d64f0, v51
	v_add_f32_e32 v2, v3, v2
	v_fma_f32 v3, v45, s7, -v7
	v_fmac_f32_e32 v5, 0xbf75a155, v40
	v_add_f32_e32 v50, v50, v1
	v_add_f32_e32 v53, v34, v29
	v_mov_b32_e32 v1, v52
	v_sub_f32_e32 v63, v34, v29
	v_add_f32_e32 v2, v3, v2
	v_add_f32_e32 v3, v26, v5
	v_fmac_f32_e32 v6, 0x3f575c64, v42
	v_fmac_f32_e32 v1, 0xbe11bafb, v53
	v_add_f32_e32 v62, v60, v61
	v_mul_f32_e32 v64, 0xbf7d64f0, v63
	v_add_f32_e32 v3, v6, v3
	v_fmac_f32_e32 v8, 0xbf27a4f4, v46
	v_add_f32_e32 v1, v1, v0
	v_fma_f32 v0, v62, s10, -v64
	v_add_f32_e32 v3, v8, v3
	v_fmac_f32_e32 v9, 0x3ed4b147, v48
	v_add_f32_e32 v0, v0, v50
	v_add_f32_e32 v4, v9, v3
	v_fma_f32 v3, v53, s10, -v52
	v_fmac_f32_e32 v64, 0xbe11bafb, v62
	v_mul_f32_e32 v50, 0xbf27a4f4, v10
	v_add_f32_e32 v3, v3, v2
	v_add_f32_e32 v2, v64, v4
	v_mov_b32_e32 v4, v50
	v_mul_f32_e32 v52, 0xbe11bafb, v11
	v_fmac_f32_e32 v4, 0x3f4178ce, v35
	v_mov_b32_e32 v5, v52
	v_add_f32_e32 v4, v27, v4
	v_fmac_f32_e32 v5, 0xbf7d64f0, v36
	v_mul_f32_e32 v64, 0x3f575c64, v39
	v_add_f32_e32 v4, v5, v4
	v_mov_b32_e32 v5, v64
	v_fmac_f32_e32 v5, 0x3f0a6770, v38
	v_mul_f32_e32 v65, 0xbf75a155, v45
	v_add_f32_e32 v4, v5, v4
	v_mov_b32_e32 v5, v65
	;; [unrolled: 4-line block ×3, first 2 shown]
	v_mul_f32_e32 v67, 0x3f7d64f0, v43
	v_fmac_f32_e32 v5, 0xbf27a4f4, v40
	v_mov_b32_e32 v6, v67
	v_add_f32_e32 v5, v26, v5
	v_fmac_f32_e32 v6, 0xbe11bafb, v42
	v_mul_f32_e32 v68, 0xbf0a6770, v47
	v_add_f32_e32 v5, v6, v5
	v_mov_b32_e32 v6, v68
	v_fmac_f32_e32 v6, 0x3f575c64, v46
	v_mul_f32_e32 v69, 0xbe903f40, v49
	v_add_f32_e32 v5, v6, v5
	v_mov_b32_e32 v6, v69
	;; [unrolled: 4-line block ×5, first 2 shown]
	v_mul_f32_e32 v73, 0xbf75a155, v11
	v_fmac_f32_e32 v6, 0x3f7d64f0, v35
	v_mov_b32_e32 v7, v73
	v_add_f32_e32 v6, v27, v6
	v_fmac_f32_e32 v7, 0xbe903f40, v36
	v_mul_f32_e32 v74, 0x3ed4b147, v39
	v_add_f32_e32 v6, v7, v6
	v_mov_b32_e32 v7, v74
	v_fmac_f32_e32 v7, 0xbf68dda4, v38
	v_mul_f32_e32 v75, 0x3f575c64, v45
	v_add_f32_e32 v6, v7, v6
	v_mov_b32_e32 v7, v75
	;; [unrolled: 4-line block ×3, first 2 shown]
	v_mul_f32_e32 v77, 0x3e903f40, v43
	v_fmac_f32_e32 v7, 0xbe11bafb, v40
	v_mov_b32_e32 v8, v77
	v_add_f32_e32 v7, v26, v7
	v_fmac_f32_e32 v8, 0xbf75a155, v42
	v_mul_f32_e32 v78, 0x3f68dda4, v47
	v_add_f32_e32 v7, v8, v7
	v_mov_b32_e32 v8, v78
	v_fmac_f32_e32 v8, 0x3ed4b147, v46
	v_mul_f32_e32 v79, 0xbf0a6770, v49
	v_add_f32_e32 v7, v8, v7
	v_mov_b32_e32 v8, v79
	;; [unrolled: 4-line block ×5, first 2 shown]
	v_mul_f32_e32 v83, 0xbf27a4f4, v11
	v_fmac_f32_e32 v8, 0x3f68dda4, v35
	v_mov_b32_e32 v9, v83
	v_add_f32_e32 v8, v27, v8
	v_fmac_f32_e32 v9, 0x3f4178ce, v36
	v_mul_f32_e32 v84, 0xbf75a155, v39
	v_add_f32_e32 v8, v9, v8
	v_mov_b32_e32 v9, v84
	v_add_f32_e32 v17, v27, v17
	v_fmac_f32_e32 v9, 0xbe903f40, v38
	v_mul_f32_e32 v85, 0xbe11bafb, v45
	v_add_f32_e32 v17, v17, v18
	v_add_f32_e32 v8, v9, v8
	v_mov_b32_e32 v9, v85
	v_add_f32_e32 v17, v17, v19
	v_fmac_f32_e32 v9, 0xbf7d64f0, v44
	v_mul_f32_e32 v86, 0xbf68dda4, v41
	v_add_f32_e32 v17, v17, v28
	v_add_f32_e32 v8, v9, v8
	v_mov_b32_e32 v9, v86
	v_mul_f32_e32 v87, 0xbf4178ce, v43
	v_add_f32_e32 v17, v17, v34
	v_fmac_f32_e32 v9, 0x3ed4b147, v40
	v_mov_b32_e32 v88, v87
	v_add_f32_e32 v17, v17, v29
	v_add_f32_e32 v9, v26, v9
	v_fmac_f32_e32 v88, 0xbf27a4f4, v42
	v_add_f32_e32 v12, v17, v12
	v_add_f32_e32 v9, v88, v9
	v_mul_f32_e32 v88, 0x3e903f40, v47
	v_add_f32_e32 v12, v12, v13
	v_add_f32_e32 v13, v26, v54
	v_mov_b32_e32 v89, v88
	v_add_f32_e32 v13, v13, v55
	v_fmac_f32_e32 v89, 0xbf75a155, v46
	v_add_f32_e32 v13, v13, v56
	v_add_f32_e32 v9, v89, v9
	v_mul_f32_e32 v89, 0x3f7d64f0, v49
	v_add_f32_e32 v13, v13, v59
	v_mov_b32_e32 v90, v89
	v_add_f32_e32 v13, v13, v60
	v_fmac_f32_e32 v90, 0xbe11bafb, v48
	v_mul_f32_e32 v91, 0x3f575c64, v53
	v_add_f32_e32 v13, v13, v61
	v_add_f32_e32 v90, v90, v9
	v_mov_b32_e32 v9, v91
	v_add_f32_e32 v13, v13, v58
	v_fmac_f32_e32 v9, 0xbf0a6770, v51
	v_mul_f32_e32 v92, 0x3f0a6770, v63
	v_add_f32_e32 v13, v13, v57
	v_add_f32_e32 v9, v9, v8
	v_mov_b32_e32 v8, v92
	v_add_f32_e32 v12, v12, v16
	v_add_f32_e32 v16, v13, v37
	v_fmac_f32_e32 v50, 0xbf4178ce, v35
	v_fmac_f32_e32 v8, 0x3f575c64, v62
	v_add_f32_e32 v13, v12, v15
	v_add_f32_e32 v12, v16, v14
	;; [unrolled: 1-line block ×3, first 2 shown]
	v_fmac_f32_e32 v52, 0x3f7d64f0, v36
	v_fma_f32 v15, v40, s6, -v66
	v_add_f32_e32 v8, v8, v90
	v_mul_f32_e32 v90, 0x3f575c64, v10
	v_add_f32_e32 v14, v52, v14
	v_fmac_f32_e32 v64, 0xbf0a6770, v38
	v_add_f32_e32 v15, v26, v15
	v_fma_f32 v16, v42, s10, -v67
	v_mov_b32_e32 v10, v90
	v_mul_f32_e32 v93, 0x3ed4b147, v11
	v_add_f32_e32 v14, v64, v14
	v_fmac_f32_e32 v65, 0xbe903f40, v44
	v_add_f32_e32 v15, v16, v15
	v_fma_f32 v16, v46, s1, -v68
	v_fmac_f32_e32 v10, 0x3f0a6770, v35
	v_mov_b32_e32 v11, v93
	v_add_f32_e32 v14, v65, v14
	v_add_f32_e32 v15, v16, v15
	v_fma_f32 v16, v48, s0, -v69
	v_fmac_f32_e32 v70, 0x3f68dda4, v51
	v_add_f32_e32 v10, v27, v10
	v_fmac_f32_e32 v11, 0x3f68dda4, v36
	v_mul_f32_e32 v39, 0xbe11bafb, v39
	v_add_f32_e32 v16, v16, v15
	v_add_f32_e32 v15, v70, v14
	v_fma_f32 v14, v62, s7, -v71
	v_fmac_f32_e32 v72, 0xbf7d64f0, v35
	v_add_f32_e32 v10, v11, v10
	v_mov_b32_e32 v11, v39
	v_add_f32_e32 v14, v14, v16
	v_add_f32_e32 v16, v27, v72
	v_fmac_f32_e32 v73, 0x3e903f40, v36
	v_fma_f32 v17, v40, s10, -v76
	v_fmac_f32_e32 v11, 0x3f7d64f0, v38
	v_mul_f32_e32 v45, 0xbf27a4f4, v45
	v_add_f32_e32 v16, v73, v16
	v_fmac_f32_e32 v74, 0x3f68dda4, v38
	v_add_f32_e32 v17, v26, v17
	v_fma_f32 v18, v42, s0, -v77
	v_add_f32_e32 v10, v11, v10
	v_mov_b32_e32 v11, v45
	v_add_f32_e32 v16, v74, v16
	v_fmac_f32_e32 v75, 0xbf0a6770, v44
	v_add_f32_e32 v17, v18, v17
	v_fma_f32 v18, v46, s7, -v78
	v_fmac_f32_e32 v11, 0x3f4178ce, v44
	v_mul_f32_e32 v41, 0xbf0a6770, v41
	v_add_f32_e32 v16, v75, v16
	v_add_f32_e32 v17, v18, v17
	v_fma_f32 v18, v48, s1, -v79
	v_fmac_f32_e32 v80, 0xbf4178ce, v51
	v_add_f32_e32 v10, v11, v10
	v_mov_b32_e32 v11, v41
	v_mul_f32_e32 v43, 0xbf68dda4, v43
	v_add_f32_e32 v18, v18, v17
	v_add_f32_e32 v17, v80, v16
	v_fma_f32 v16, v62, s6, -v81
	v_fmac_f32_e32 v82, 0xbf68dda4, v35
	v_fmac_f32_e32 v11, 0x3f575c64, v40
	v_mov_b32_e32 v94, v43
	v_add_f32_e32 v16, v16, v18
	v_add_f32_e32 v18, v27, v82
	v_fmac_f32_e32 v83, 0xbf4178ce, v36
	v_fma_f32 v19, v40, s7, -v86
	v_add_f32_e32 v11, v26, v11
	v_fmac_f32_e32 v94, 0x3ed4b147, v42
	v_mul_f32_e32 v47, 0xbf7d64f0, v47
	v_add_f32_e32 v18, v83, v18
	v_fmac_f32_e32 v84, 0x3e903f40, v38
	v_add_f32_e32 v19, v26, v19
	v_fma_f32 v28, v42, s6, -v87
	v_add_f32_e32 v11, v94, v11
	v_mov_b32_e32 v94, v47
	v_add_f32_e32 v18, v84, v18
	v_fmac_f32_e32 v85, 0x3f7d64f0, v44
	v_add_f32_e32 v19, v28, v19
	v_fma_f32 v28, v46, s0, -v88
	v_fmac_f32_e32 v94, 0xbe11bafb, v46
	v_mul_f32_e32 v49, 0xbf4178ce, v49
	v_add_f32_e32 v18, v85, v18
	v_add_f32_e32 v19, v28, v19
	v_fma_f32 v28, v48, s10, -v89
	v_fmac_f32_e32 v91, 0x3f0a6770, v51
	v_add_f32_e32 v11, v94, v11
	v_mov_b32_e32 v94, v49
	v_add_f32_e32 v28, v28, v19
	v_add_f32_e32 v19, v91, v18
	v_fma_f32 v18, v62, s1, -v92
	v_fmac_f32_e32 v94, 0xbf27a4f4, v48
	v_mul_f32_e32 v53, 0xbf75a155, v53
	v_add_f32_e32 v18, v18, v28
	v_fmac_f32_e32 v90, 0xbf0a6770, v35
	v_fma_f32 v28, v40, s1, -v41
	v_add_f32_e32 v94, v94, v11
	v_mov_b32_e32 v11, v53
	v_fmac_f32_e32 v93, 0xbf68dda4, v36
	v_add_f32_e32 v27, v27, v90
	v_add_f32_e32 v26, v26, v28
	v_fma_f32 v28, v42, s7, -v43
	v_fmac_f32_e32 v11, 0x3e903f40, v51
	v_mul_f32_e32 v63, 0xbe903f40, v63
	v_add_f32_e32 v27, v93, v27
	v_fmac_f32_e32 v39, 0xbf7d64f0, v38
	v_add_f32_e32 v26, v28, v26
	v_fma_f32 v28, v46, s10, -v47
	v_add_f32_e32 v11, v11, v10
	v_mov_b32_e32 v10, v63
	v_add_f32_e32 v27, v39, v27
	v_fmac_f32_e32 v45, 0xbf4178ce, v44
	v_add_f32_e32 v26, v28, v26
	v_fma_f32 v28, v48, s6, -v49
	v_fmac_f32_e32 v10, 0xbf75a155, v62
	v_add_f32_e32 v27, v45, v27
	v_fmac_f32_e32 v53, 0xbe903f40, v51
	v_add_f32_e32 v26, v28, v26
	v_fma_f32 v28, v62, s0, -v63
	v_add_f32_e32 v10, v10, v94
	v_add_f32_e32 v27, v53, v27
	;; [unrolled: 1-line block ×3, first 2 shown]
	ds_write_b64 v30, v[12:13]
	ds_write2_b64 v21, v[10:11], v[8:9] offset0:24 offset1:48
	ds_write2_b64 v21, v[6:7], v[4:5] offset0:72 offset1:96
	ds_write2_b64 v21, v[2:3], v[0:1] offset0:120 offset1:144
	ds_write2_b64 v21, v[14:15], v[16:17] offset0:168 offset1:192
	ds_write2_b64 v21, v[18:19], v[26:27] offset0:216 offset1:240
.LBB0_20:
	s_or_b64 exec, exec, s[4:5]
	s_waitcnt lgkmcnt(0)
	s_barrier
	ds_read_b64 v[2:3], v30
	v_sub_u32_e32 v4, v31, v33
	v_cmp_ne_u32_e64 s[0:1], 0, v20
                                        ; implicit-def: $vgpr6
                                        ; implicit-def: $vgpr5
                                        ; implicit-def: $vgpr0_vgpr1
	s_and_saveexec_b64 s[4:5], s[0:1]
	s_xor_b64 s[4:5], exec, s[4:5]
	s_cbranch_execz .LBB0_22
; %bb.21:
	v_mov_b32_e32 v21, 0
	v_lshlrev_b64 v[0:1], 3, v[20:21]
	v_mov_b32_e32 v5, s9
	v_add_co_u32_e64 v0, s[0:1], s8, v0
	v_addc_co_u32_e64 v1, s[0:1], v5, v1, s[0:1]
	global_load_dwordx2 v[0:1], v[0:1], off offset:2048
	ds_read_b64 v[5:6], v4 offset:2112
	s_waitcnt lgkmcnt(0)
	v_add_f32_e32 v7, v5, v2
	v_add_f32_e32 v8, v6, v3
	v_sub_f32_e32 v2, v2, v5
	v_sub_f32_e32 v3, v3, v6
	v_mul_f32_e32 v6, 0.5, v8
	v_mul_f32_e32 v2, 0.5, v2
	;; [unrolled: 1-line block ×3, first 2 shown]
	s_waitcnt vmcnt(0)
	v_mul_f32_e32 v8, v1, v2
	v_fma_f32 v9, v6, v1, v3
	v_fma_f32 v1, v6, v1, -v3
	v_fma_f32 v5, 0.5, v7, v8
	v_fma_f32 v3, -v0, v2, v9
	v_fma_f32 v7, v7, 0.5, -v8
	v_fma_f32 v1, -v0, v2, v1
	v_fmac_f32_e32 v5, v0, v6
	ds_write_b32 v30, v3 offset:4
	v_fma_f32 v6, -v0, v6, v7
	ds_write_b32 v4, v1 offset:2116
	v_mov_b32_e32 v0, v20
	v_mov_b32_e32 v1, v21
                                        ; implicit-def: $vgpr2_vgpr3
.LBB0_22:
	s_andn2_saveexec_b64 s[0:1], s[4:5]
	s_cbranch_execz .LBB0_24
; %bb.23:
	v_mov_b32_e32 v0, 0
	ds_write_b32 v30, v0 offset:4
	ds_write_b32 v4, v0 offset:2116
	ds_read_b32 v0, v31 offset:1060
	s_waitcnt lgkmcnt(3)
	v_add_f32_e32 v5, v2, v3
	v_sub_f32_e32 v6, v2, v3
	s_waitcnt lgkmcnt(0)
	v_xor_b32_e32 v2, 0x80000000, v0
	v_mov_b32_e32 v0, 0
	v_mov_b32_e32 v1, 0
	ds_write_b32 v31, v2 offset:1060
.LBB0_24:
	s_or_b64 exec, exec, s[0:1]
	v_mov_b32_e32 v26, 0
	s_waitcnt lgkmcnt(0)
	v_lshlrev_b64 v[2:3], 3, v[25:26]
	v_mov_b32_e32 v7, s9
	v_add_co_u32_e64 v2, s[0:1], s8, v2
	v_addc_co_u32_e64 v3, s[0:1], v7, v3, s[0:1]
	global_load_dwordx2 v[2:3], v[2:3], off offset:2048
	v_mov_b32_e32 v25, v26
	v_lshlrev_b64 v[7:8], 3, v[24:25]
	v_mov_b32_e32 v9, s9
	v_add_co_u32_e64 v7, s[0:1], s8, v7
	v_addc_co_u32_e64 v8, s[0:1], v9, v8, s[0:1]
	global_load_dwordx2 v[7:8], v[7:8], off offset:2048
	s_add_u32 s0, s8, 0x800
	v_lshlrev_b64 v[0:1], 3, v[0:1]
	s_addc_u32 s1, s9, 0
	v_mov_b32_e32 v10, s1
	v_add_co_u32_e64 v9, s[0:1], s0, v0
	v_addc_co_u32_e64 v10, s[0:1], v10, v1, s[0:1]
	global_load_dwordx2 v[9:10], v[9:10], off offset:792
	ds_write_b32 v30, v5
	ds_write_b32 v4, v6 offset:2112
	ds_read_b64 v[5:6], v32
	ds_read_b64 v[11:12], v4 offset:1848
	v_lshl_add_u32 v13, v24, 3, v31
	s_waitcnt lgkmcnt(0)
	v_add_f32_e32 v14, v5, v11
	v_sub_f32_e32 v5, v5, v11
	v_add_f32_e32 v15, v6, v12
	v_sub_f32_e32 v6, v6, v12
	v_mul_f32_e32 v5, 0.5, v5
	v_mul_f32_e32 v11, 0.5, v15
	;; [unrolled: 1-line block ×3, first 2 shown]
	s_waitcnt vmcnt(2)
	v_mul_f32_e32 v12, v3, v5
	v_fma_f32 v15, v11, v3, v6
	v_fma_f32 v3, v11, v3, -v6
	v_fma_f32 v6, 0.5, v14, v12
	v_fma_f32 v15, -v2, v5, v15
	v_fma_f32 v12, v14, 0.5, -v12
	v_fmac_f32_e32 v6, v2, v11
	v_fma_f32 v3, -v2, v5, v3
	v_fma_f32 v2, -v2, v11, v12
	ds_write2_b32 v32, v6, v15 offset1:1
	ds_write_b64 v4, v[2:3] offset:1848
	ds_read_b64 v[2:3], v13
	ds_read_b64 v[5:6], v4 offset:1584
	s_waitcnt lgkmcnt(0)
	v_add_f32_e32 v11, v2, v5
	v_sub_f32_e32 v2, v2, v5
	v_add_f32_e32 v12, v3, v6
	v_sub_f32_e32 v3, v3, v6
	v_mul_f32_e32 v2, 0.5, v2
	v_mul_f32_e32 v5, 0.5, v12
	;; [unrolled: 1-line block ×3, first 2 shown]
	s_waitcnt vmcnt(1)
	v_mul_f32_e32 v6, v8, v2
	v_fma_f32 v12, v5, v8, v3
	v_fma_f32 v3, v5, v8, -v3
	v_fma_f32 v8, 0.5, v11, v6
	v_fma_f32 v12, -v7, v2, v12
	v_fma_f32 v6, v11, 0.5, -v6
	v_fmac_f32_e32 v8, v7, v5
	v_fma_f32 v3, -v7, v2, v3
	v_fma_f32 v2, -v7, v5, v6
	ds_write2_b32 v13, v8, v12 offset1:1
	ds_write_b64 v4, v[2:3] offset:1584
	ds_read_b64 v[2:3], v30 offset:792
	ds_read_b64 v[5:6], v4 offset:1320
	s_waitcnt lgkmcnt(0)
	v_add_f32_e32 v7, v2, v5
	v_sub_f32_e32 v2, v2, v5
	v_add_f32_e32 v8, v3, v6
	v_sub_f32_e32 v3, v3, v6
	v_mul_f32_e32 v2, 0.5, v2
	v_mul_f32_e32 v5, 0.5, v8
	;; [unrolled: 1-line block ×3, first 2 shown]
	s_waitcnt vmcnt(0)
	v_mul_f32_e32 v6, v10, v2
	v_fma_f32 v8, v5, v10, v3
	v_fma_f32 v3, v5, v10, -v3
	v_fma_f32 v10, 0.5, v7, v6
	v_fma_f32 v8, -v9, v2, v8
	v_fma_f32 v6, v7, 0.5, -v6
	v_fmac_f32_e32 v10, v9, v5
	v_fma_f32 v3, -v9, v2, v3
	v_fma_f32 v2, -v9, v5, v6
	ds_write2_b32 v30, v10, v8 offset0:198 offset1:199
	ds_write_b64 v4, v[2:3] offset:1320
	s_waitcnt lgkmcnt(0)
	s_barrier
	s_and_saveexec_b64 s[0:1], vcc
	s_cbranch_execz .LBB0_27
; %bb.25:
	ds_read2_b64 v[4:7], v30 offset1:33
	v_mov_b32_e32 v3, s3
	v_add_co_u32_e32 v2, vcc, s2, v22
	ds_read2_b64 v[8:11], v30 offset0:66 offset1:99
	v_addc_co_u32_e32 v3, vcc, v3, v23, vcc
	v_add_co_u32_e32 v0, vcc, v2, v0
	ds_read2_b64 v[12:15], v30 offset0:132 offset1:165
	v_addc_co_u32_e32 v1, vcc, v3, v1, vcc
	s_waitcnt lgkmcnt(2)
	global_store_dwordx2 v[0:1], v[4:5], off
	global_store_dwordx2 v[0:1], v[6:7], off offset:264
	ds_read2_b64 v[4:7], v30 offset0:198 offset1:231
	v_cmp_eq_u32_e32 vcc, 32, v20
	s_waitcnt lgkmcnt(2)
	global_store_dwordx2 v[0:1], v[8:9], off offset:528
	global_store_dwordx2 v[0:1], v[10:11], off offset:792
	s_waitcnt lgkmcnt(1)
	global_store_dwordx2 v[0:1], v[12:13], off offset:1056
	global_store_dwordx2 v[0:1], v[14:15], off offset:1320
	;; [unrolled: 3-line block ×3, first 2 shown]
	s_and_b64 exec, exec, vcc
	s_cbranch_execz .LBB0_27
; %bb.26:
	ds_read_b64 v[0:1], v30 offset:1856
	s_waitcnt lgkmcnt(0)
	global_store_dwordx2 v[2:3], v[0:1], off offset:2112
.LBB0_27:
	s_endpgm
	.section	.rodata,"a",@progbits
	.p2align	6, 0x0
	.amdhsa_kernel fft_rtc_back_len264_factors_8_3_11_wgs_231_tpt_33_sp_ip_CI_unitstride_sbrr_R2C_dirReg
		.amdhsa_group_segment_fixed_size 0
		.amdhsa_private_segment_fixed_size 0
		.amdhsa_kernarg_size 88
		.amdhsa_user_sgpr_count 6
		.amdhsa_user_sgpr_private_segment_buffer 1
		.amdhsa_user_sgpr_dispatch_ptr 0
		.amdhsa_user_sgpr_queue_ptr 0
		.amdhsa_user_sgpr_kernarg_segment_ptr 1
		.amdhsa_user_sgpr_dispatch_id 0
		.amdhsa_user_sgpr_flat_scratch_init 0
		.amdhsa_user_sgpr_private_segment_size 0
		.amdhsa_uses_dynamic_stack 0
		.amdhsa_system_sgpr_private_segment_wavefront_offset 0
		.amdhsa_system_sgpr_workgroup_id_x 1
		.amdhsa_system_sgpr_workgroup_id_y 0
		.amdhsa_system_sgpr_workgroup_id_z 0
		.amdhsa_system_sgpr_workgroup_info 0
		.amdhsa_system_vgpr_workitem_id 0
		.amdhsa_next_free_vgpr 95
		.amdhsa_next_free_sgpr 22
		.amdhsa_reserve_vcc 1
		.amdhsa_reserve_flat_scratch 0
		.amdhsa_float_round_mode_32 0
		.amdhsa_float_round_mode_16_64 0
		.amdhsa_float_denorm_mode_32 3
		.amdhsa_float_denorm_mode_16_64 3
		.amdhsa_dx10_clamp 1
		.amdhsa_ieee_mode 1
		.amdhsa_fp16_overflow 0
		.amdhsa_exception_fp_ieee_invalid_op 0
		.amdhsa_exception_fp_denorm_src 0
		.amdhsa_exception_fp_ieee_div_zero 0
		.amdhsa_exception_fp_ieee_overflow 0
		.amdhsa_exception_fp_ieee_underflow 0
		.amdhsa_exception_fp_ieee_inexact 0
		.amdhsa_exception_int_div_zero 0
	.end_amdhsa_kernel
	.text
.Lfunc_end0:
	.size	fft_rtc_back_len264_factors_8_3_11_wgs_231_tpt_33_sp_ip_CI_unitstride_sbrr_R2C_dirReg, .Lfunc_end0-fft_rtc_back_len264_factors_8_3_11_wgs_231_tpt_33_sp_ip_CI_unitstride_sbrr_R2C_dirReg
                                        ; -- End function
	.section	.AMDGPU.csdata,"",@progbits
; Kernel info:
; codeLenInByte = 6032
; NumSgprs: 26
; NumVgprs: 95
; ScratchSize: 0
; MemoryBound: 0
; FloatMode: 240
; IeeeMode: 1
; LDSByteSize: 0 bytes/workgroup (compile time only)
; SGPRBlocks: 3
; VGPRBlocks: 23
; NumSGPRsForWavesPerEU: 26
; NumVGPRsForWavesPerEU: 95
; Occupancy: 2
; WaveLimiterHint : 1
; COMPUTE_PGM_RSRC2:SCRATCH_EN: 0
; COMPUTE_PGM_RSRC2:USER_SGPR: 6
; COMPUTE_PGM_RSRC2:TRAP_HANDLER: 0
; COMPUTE_PGM_RSRC2:TGID_X_EN: 1
; COMPUTE_PGM_RSRC2:TGID_Y_EN: 0
; COMPUTE_PGM_RSRC2:TGID_Z_EN: 0
; COMPUTE_PGM_RSRC2:TIDIG_COMP_CNT: 0
	.type	__hip_cuid_a5875cec6e66b367,@object ; @__hip_cuid_a5875cec6e66b367
	.section	.bss,"aw",@nobits
	.globl	__hip_cuid_a5875cec6e66b367
__hip_cuid_a5875cec6e66b367:
	.byte	0                               ; 0x0
	.size	__hip_cuid_a5875cec6e66b367, 1

	.ident	"AMD clang version 19.0.0git (https://github.com/RadeonOpenCompute/llvm-project roc-6.4.0 25133 c7fe45cf4b819c5991fe208aaa96edf142730f1d)"
	.section	".note.GNU-stack","",@progbits
	.addrsig
	.addrsig_sym __hip_cuid_a5875cec6e66b367
	.amdgpu_metadata
---
amdhsa.kernels:
  - .args:
      - .actual_access:  read_only
        .address_space:  global
        .offset:         0
        .size:           8
        .value_kind:     global_buffer
      - .offset:         8
        .size:           8
        .value_kind:     by_value
      - .actual_access:  read_only
        .address_space:  global
        .offset:         16
        .size:           8
        .value_kind:     global_buffer
      - .actual_access:  read_only
        .address_space:  global
        .offset:         24
        .size:           8
        .value_kind:     global_buffer
      - .offset:         32
        .size:           8
        .value_kind:     by_value
      - .actual_access:  read_only
        .address_space:  global
        .offset:         40
        .size:           8
        .value_kind:     global_buffer
      - .actual_access:  read_only
        .address_space:  global
        .offset:         48
        .size:           8
        .value_kind:     global_buffer
      - .offset:         56
        .size:           4
        .value_kind:     by_value
      - .actual_access:  read_only
        .address_space:  global
        .offset:         64
        .size:           8
        .value_kind:     global_buffer
      - .actual_access:  read_only
        .address_space:  global
        .offset:         72
        .size:           8
        .value_kind:     global_buffer
      - .address_space:  global
        .offset:         80
        .size:           8
        .value_kind:     global_buffer
    .group_segment_fixed_size: 0
    .kernarg_segment_align: 8
    .kernarg_segment_size: 88
    .language:       OpenCL C
    .language_version:
      - 2
      - 0
    .max_flat_workgroup_size: 231
    .name:           fft_rtc_back_len264_factors_8_3_11_wgs_231_tpt_33_sp_ip_CI_unitstride_sbrr_R2C_dirReg
    .private_segment_fixed_size: 0
    .sgpr_count:     26
    .sgpr_spill_count: 0
    .symbol:         fft_rtc_back_len264_factors_8_3_11_wgs_231_tpt_33_sp_ip_CI_unitstride_sbrr_R2C_dirReg.kd
    .uniform_work_group_size: 1
    .uses_dynamic_stack: false
    .vgpr_count:     95
    .vgpr_spill_count: 0
    .wavefront_size: 64
amdhsa.target:   amdgcn-amd-amdhsa--gfx906
amdhsa.version:
  - 1
  - 2
...

	.end_amdgpu_metadata
